;; amdgpu-corpus repo=ROCm/rocFFT kind=compiled arch=gfx1201 opt=O3
	.text
	.amdgcn_target "amdgcn-amd-amdhsa--gfx1201"
	.amdhsa_code_object_version 6
	.protected	bluestein_single_back_len594_dim1_dp_op_CI_CI ; -- Begin function bluestein_single_back_len594_dim1_dp_op_CI_CI
	.globl	bluestein_single_back_len594_dim1_dp_op_CI_CI
	.p2align	8
	.type	bluestein_single_back_len594_dim1_dp_op_CI_CI,@function
bluestein_single_back_len594_dim1_dp_op_CI_CI: ; @bluestein_single_back_len594_dim1_dp_op_CI_CI
; %bb.0:
	s_load_b128 s[8:11], s[0:1], 0x28
	v_mul_u32_u24_e32 v1, 0x296, v0
	s_mov_b32 s2, exec_lo
	v_mov_b32_e32 v97, 0
	s_delay_alu instid0(VALU_DEP_2) | instskip(NEXT) | instid1(VALU_DEP_1)
	v_lshrrev_b32_e32 v1, 16, v1
	v_add_nc_u32_e32 v96, ttmp9, v1
	s_wait_kmcnt 0x0
	s_delay_alu instid0(VALU_DEP_1)
	v_cmpx_gt_u64_e64 s[8:9], v[96:97]
	s_cbranch_execz .LBB0_15
; %bb.1:
	s_clause 0x1
	s_load_b64 s[12:13], s[0:1], 0x0
	s_load_b64 s[8:9], s[0:1], 0x38
	v_mul_lo_u16 v1, 0x63, v1
	s_delay_alu instid0(VALU_DEP_1) | instskip(NEXT) | instid1(VALU_DEP_1)
	v_sub_nc_u16 v0, v0, v1
	v_and_b32_e32 v186, 0xffff, v0
	v_cmp_gt_u16_e32 vcc_lo, 54, v0
	s_delay_alu instid0(VALU_DEP_2)
	v_lshlrev_b32_e32 v185, 4, v186
	s_and_saveexec_b32 s3, vcc_lo
	s_cbranch_execz .LBB0_3
; %bb.2:
	s_load_b64 s[4:5], s[0:1], 0x18
	s_wait_kmcnt 0x0
	s_load_b128 s[4:7], s[4:5], 0x0
	s_wait_kmcnt 0x0
	v_mad_co_u64_u32 v[8:9], null, s4, v186, 0
	v_mad_co_u64_u32 v[0:1], null, s6, v96, 0
	s_delay_alu instid0(VALU_DEP_2) | instskip(NEXT) | instid1(VALU_DEP_1)
	v_mov_b32_e32 v2, v9
	v_mad_co_u64_u32 v[3:4], null, s7, v96, v[1:2]
	s_delay_alu instid0(VALU_DEP_1) | instskip(SKIP_2) | instid1(VALU_DEP_2)
	v_mov_b32_e32 v1, v3
	v_mad_co_u64_u32 v[4:5], null, s5, v186, v[2:3]
	s_mul_u64 s[4:5], s[4:5], 0x360
	v_lshlrev_b64_e32 v[10:11], 4, v[0:1]
	s_delay_alu instid0(VALU_DEP_2) | instskip(SKIP_4) | instid1(VALU_DEP_1)
	v_mov_b32_e32 v9, v4
	s_clause 0x1
	global_load_b128 v[0:3], v185, s[12:13]
	global_load_b128 v[4:7], v185, s[12:13] offset:864
	v_add_co_u32 v18, s2, s10, v10
	v_add_co_ci_u32_e64 v19, s2, s11, v11, s2
	v_lshlrev_b64_e32 v[16:17], 4, v[8:9]
	s_clause 0x1
	global_load_b128 v[8:11], v185, s[12:13] offset:1728
	global_load_b128 v[12:15], v185, s[12:13] offset:2592
	v_add_co_u32 v32, s2, v18, v16
	s_wait_alu 0xf1ff
	v_add_co_ci_u32_e64 v33, s2, v19, v17, s2
	s_clause 0x1
	global_load_b128 v[16:19], v185, s[12:13] offset:3456
	global_load_b128 v[20:23], v185, s[12:13] offset:4320
	s_wait_alu 0xfffe
	v_add_co_u32 v36, s2, v32, s4
	s_wait_alu 0xf1ff
	v_add_co_ci_u32_e64 v37, s2, s5, v33, s2
	s_clause 0x1
	global_load_b128 v[24:27], v185, s[12:13] offset:5184
	global_load_b128 v[28:31], v185, s[12:13] offset:6048
	v_add_co_u32 v40, s2, v36, s4
	s_wait_alu 0xf1ff
	v_add_co_ci_u32_e64 v41, s2, s5, v37, s2
	s_clause 0x1
	global_load_b128 v[32:35], v[32:33], off
	global_load_b128 v[36:39], v[36:37], off
	v_add_co_u32 v44, s2, v40, s4
	s_wait_alu 0xf1ff
	v_add_co_ci_u32_e64 v45, s2, s5, v41, s2
	s_delay_alu instid0(VALU_DEP_2) | instskip(SKIP_1) | instid1(VALU_DEP_2)
	v_add_co_u32 v48, s2, v44, s4
	s_wait_alu 0xf1ff
	v_add_co_ci_u32_e64 v49, s2, s5, v45, s2
	s_clause 0x1
	global_load_b128 v[40:43], v[40:41], off
	global_load_b128 v[44:47], v[44:45], off
	v_add_co_u32 v52, s2, v48, s4
	s_wait_alu 0xf1ff
	v_add_co_ci_u32_e64 v53, s2, s5, v49, s2
	global_load_b128 v[48:51], v[48:49], off
	v_add_co_u32 v56, s2, v52, s4
	s_wait_alu 0xf1ff
	v_add_co_ci_u32_e64 v57, s2, s5, v53, s2
	;; [unrolled: 4-line block ×6, first 2 shown]
	s_clause 0x1
	global_load_b128 v[68:71], v185, s[12:13] offset:6912
	global_load_b128 v[72:75], v185, s[12:13] offset:7776
	global_load_b128 v[76:79], v[76:77], off
	global_load_b128 v[80:83], v185, s[12:13] offset:8640
	global_load_b128 v[84:87], v[84:85], off
	s_wait_loadcnt 0xd
	v_mul_f64_e32 v[88:89], v[34:35], v[2:3]
	v_mul_f64_e32 v[2:3], v[32:33], v[2:3]
	s_wait_loadcnt 0xc
	v_mul_f64_e32 v[90:91], v[38:39], v[6:7]
	v_mul_f64_e32 v[6:7], v[36:37], v[6:7]
	;; [unrolled: 3-line block ×11, first 2 shown]
	v_fma_f64 v[30:31], v[32:33], v[0:1], v[88:89]
	v_fma_f64 v[32:33], v[34:35], v[0:1], -v[2:3]
	v_fma_f64 v[0:1], v[36:37], v[4:5], v[90:91]
	v_fma_f64 v[2:3], v[38:39], v[4:5], -v[6:7]
	;; [unrolled: 2-line block ×11, first 2 shown]
	ds_store_b128 v185, v[30:33]
	ds_store_b128 v185, v[0:3] offset:864
	ds_store_b128 v185, v[4:7] offset:1728
	;; [unrolled: 1-line block ×10, first 2 shown]
.LBB0_3:
	s_or_b32 exec_lo, exec_lo, s3
	s_clause 0x1
	s_load_b64 s[2:3], s[0:1], 0x20
	s_load_b64 s[4:5], s[0:1], 0x8
	global_wb scope:SCOPE_SE
	s_wait_dscnt 0x0
	s_wait_kmcnt 0x0
	s_barrier_signal -1
	s_barrier_wait -1
	global_inv scope:SCOPE_SE
                                        ; implicit-def: $vgpr12_vgpr13
                                        ; implicit-def: $vgpr44_vgpr45
                                        ; implicit-def: $vgpr52_vgpr53
                                        ; implicit-def: $vgpr60_vgpr61
                                        ; implicit-def: $vgpr56_vgpr57
                                        ; implicit-def: $vgpr48_vgpr49
                                        ; implicit-def: $vgpr40_vgpr41
                                        ; implicit-def: $vgpr36_vgpr37
                                        ; implicit-def: $vgpr28_vgpr29
                                        ; implicit-def: $vgpr16_vgpr17
                                        ; implicit-def: $vgpr24_vgpr25
	s_and_saveexec_b32 s0, vcc_lo
	s_cbranch_execz .LBB0_5
; %bb.4:
	ds_load_b128 v[12:15], v185
	ds_load_b128 v[44:47], v185 offset:864
	ds_load_b128 v[52:55], v185 offset:1728
	ds_load_b128 v[60:63], v185 offset:2592
	ds_load_b128 v[56:59], v185 offset:3456
	ds_load_b128 v[48:51], v185 offset:4320
	ds_load_b128 v[40:43], v185 offset:5184
	ds_load_b128 v[36:39], v185 offset:6048
	ds_load_b128 v[28:31], v185 offset:6912
	ds_load_b128 v[16:19], v185 offset:7776
	ds_load_b128 v[24:27], v185 offset:8640
.LBB0_5:
	s_wait_alu 0xfffe
	s_or_b32 exec_lo, exec_lo, s0
	s_wait_dscnt 0x0
	v_add_f64_e64 v[0:1], v[46:47], -v[26:27]
	v_add_f64_e64 v[2:3], v[44:45], -v[24:25]
	s_mov_b32 s18, 0xf8bb580b
	s_mov_b32 s22, 0x43842ef
	;; [unrolled: 1-line block ×10, first 2 shown]
	v_add_f64_e32 v[64:65], v[44:45], v[24:25]
	v_add_f64_e32 v[66:67], v[46:47], v[26:27]
	v_add_f64_e64 v[4:5], v[54:55], -v[18:19]
	v_add_f64_e64 v[6:7], v[52:53], -v[16:17]
	s_mov_b32 s0, 0x8764f0ba
	s_mov_b32 s10, 0xd9c712b6
	;; [unrolled: 1-line block ×16, first 2 shown]
	v_add_f64_e32 v[159:160], v[52:53], v[16:17]
	v_add_f64_e32 v[163:164], v[54:55], v[18:19]
	;; [unrolled: 1-line block ×4, first 2 shown]
	v_add_f64_e64 v[139:140], v[58:59], -v[38:39]
	v_add_f64_e64 v[143:144], v[56:57], -v[36:37]
	v_mul_f64_e32 v[68:69], s[18:19], v[0:1]
	v_mul_f64_e32 v[70:71], s[18:19], v[2:3]
	;; [unrolled: 1-line block ×10, first 2 shown]
	v_add_f64_e64 v[0:1], v[62:63], -v[30:31]
	v_add_f64_e64 v[2:3], v[60:61], -v[28:29]
	v_add_f64_e32 v[177:178], v[56:57], v[36:37]
	v_add_f64_e32 v[179:180], v[58:59], v[38:39]
	v_mul_f64_e32 v[92:93], s[20:21], v[4:5]
	v_mul_f64_e32 v[97:98], s[20:21], v[6:7]
	;; [unrolled: 1-line block ×10, first 2 shown]
	s_mov_b32 s21, 0x3fed1bb4
	v_add_f64_e64 v[187:188], v[50:51], -v[42:43]
	v_add_f64_e64 v[189:190], v[48:49], -v[40:41]
	global_wb scope:SCOPE_SE
	s_barrier_signal -1
	s_barrier_wait -1
	global_inv scope:SCOPE_SE
	v_mul_f64_e32 v[105:106], s[34:35], v[139:140]
	v_mul_f64_e32 v[111:112], s[34:35], v[143:144]
	s_wait_alu 0xfffe
	v_fma_f64 v[4:5], v[64:65], s[0:1], v[68:69]
	v_fma_f64 v[6:7], v[66:67], s[0:1], -v[70:71]
	v_fma_f64 v[8:9], v[64:65], s[10:11], v[72:73]
	v_fma_f64 v[10:11], v[66:67], s[10:11], -v[74:75]
	;; [unrolled: 2-line block ×5, first 2 shown]
	v_mul_f64_e32 v[84:85], s[22:23], v[0:1]
	v_mul_f64_e32 v[86:87], s[22:23], v[2:3]
	;; [unrolled: 1-line block ×10, first 2 shown]
	v_fma_f64 v[0:1], v[159:160], s[10:11], v[92:93]
	v_fma_f64 v[2:3], v[163:164], s[10:11], -v[97:98]
	v_fma_f64 v[149:150], v[159:160], s[14:15], v[103:104]
	v_fma_f64 v[151:152], v[163:164], s[14:15], -v[109:110]
	;; [unrolled: 2-line block ×5, first 2 shown]
	v_mul_f64_e32 v[115:116], s[18:19], v[139:140]
	v_mul_f64_e32 v[123:124], s[18:19], v[143:144]
	v_mul_f64_e32 v[129:130], s[26:27], v[139:140]
	v_mul_f64_e32 v[137:138], s[26:27], v[143:144]
	v_mul_f64_e32 v[147:148], s[20:21], v[139:140]
	v_mul_f64_e32 v[155:156], s[20:21], v[143:144]
	v_fma_f64 v[211:212], v[177:178], s[6:7], v[105:106]
	v_fma_f64 v[213:214], v[179:180], s[6:7], -v[111:112]
	v_add_f64_e32 v[4:5], v[12:13], v[4:5]
	v_add_f64_e32 v[6:7], v[14:15], v[6:7]
	;; [unrolled: 1-line block ×10, first 2 shown]
	v_mul_f64_e32 v[94:95], s[24:25], v[139:140]
	v_mul_f64_e32 v[99:100], s[24:25], v[143:144]
	v_fma_f64 v[191:192], v[169:170], s[6:7], v[84:85]
	v_fma_f64 v[193:194], v[171:172], s[6:7], -v[86:87]
	v_fma_f64 v[195:196], v[169:170], s[16:17], v[88:89]
	v_fma_f64 v[197:198], v[171:172], s[16:17], -v[90:91]
	v_fma_f64 v[199:200], v[169:170], s[0:1], v[101:102]
	v_fma_f64 v[201:202], v[171:172], s[0:1], -v[107:108]
	v_fma_f64 v[203:204], v[169:170], s[14:15], v[121:122]
	v_fma_f64 v[205:206], v[171:172], s[14:15], -v[135:136]
	v_fma_f64 v[207:208], v[169:170], s[10:11], v[119:120]
	v_fma_f64 v[209:210], v[171:172], s[10:11], -v[127:128]
	v_mul_f64_e32 v[139:140], s[26:27], v[187:188]
	v_mul_f64_e32 v[143:144], s[26:27], v[189:190]
	v_fma_f64 v[215:216], v[177:178], s[0:1], v[115:116]
	v_fma_f64 v[217:218], v[179:180], s[0:1], -v[123:124]
	v_fma_f64 v[219:220], v[177:178], s[16:17], v[129:130]
	v_fma_f64 v[221:222], v[179:180], s[16:17], -v[137:138]
	;; [unrolled: 2-line block ×3, first 2 shown]
	v_add_f64_e32 v[0:1], v[0:1], v[4:5]
	v_add_f64_e32 v[2:3], v[2:3], v[6:7]
	;; [unrolled: 1-line block ×12, first 2 shown]
	v_mul_f64_e32 v[149:150], s[28:29], v[187:188]
	v_mul_f64_e32 v[151:152], s[28:29], v[189:190]
	;; [unrolled: 1-line block ×8, first 2 shown]
	v_fma_f64 v[187:188], v[177:178], s[14:15], v[94:95]
	v_fma_f64 v[189:190], v[179:180], s[14:15], -v[99:100]
	v_add_f64_e32 v[0:1], v[191:192], v[0:1]
	v_add_f64_e32 v[2:3], v[193:194], v[2:3]
	;; [unrolled: 1-line block ×10, first 2 shown]
	v_fma_f64 v[191:192], v[181:182], s[16:17], v[139:140]
	v_fma_f64 v[193:194], v[183:184], s[16:17], -v[143:144]
	v_fma_f64 v[195:196], v[181:182], s[0:1], v[149:150]
	v_fma_f64 v[197:198], v[183:184], s[0:1], -v[151:152]
	;; [unrolled: 2-line block ×5, first 2 shown]
	v_add_f64_e32 v[0:1], v[187:188], v[0:1]
	v_add_f64_e32 v[2:3], v[189:190], v[2:3]
	;; [unrolled: 1-line block ×10, first 2 shown]
	v_mul_lo_u16 v187, v186, 11
	v_add_f64_e32 v[0:1], v[191:192], v[0:1]
	v_add_f64_e32 v[2:3], v[193:194], v[2:3]
	;; [unrolled: 1-line block ×10, first 2 shown]
	s_and_saveexec_b32 s18, vcc_lo
	s_cbranch_execz .LBB0_7
; %bb.6:
	v_add_f64_e32 v[46:47], v[14:15], v[46:47]
	v_add_f64_e32 v[44:45], v[12:13], v[44:45]
	v_mul_f64_e32 v[190:191], s[10:11], v[66:67]
	v_mul_f64_e32 v[192:193], s[10:11], v[64:65]
	;; [unrolled: 1-line block ×10, first 2 shown]
	v_add_f64_e32 v[46:47], v[46:47], v[54:55]
	v_add_f64_e32 v[44:45], v[44:45], v[52:53]
	v_mul_f64_e32 v[52:53], s[16:17], v[66:67]
	v_mul_f64_e32 v[54:55], s[16:17], v[64:65]
	v_add_f64_e32 v[74:75], v[74:75], v[190:191]
	v_add_f64_e64 v[72:73], v[192:193], -v[72:73]
	v_add_f64_e32 v[78:79], v[78:79], v[188:189]
	v_add_f64_e64 v[76:77], v[194:195], -v[76:77]
	;; [unrolled: 2-line block ×5, first 2 shown]
	v_add_f64_e32 v[46:47], v[46:47], v[62:63]
	v_add_f64_e32 v[44:45], v[44:45], v[60:61]
	v_mul_f64_e32 v[60:61], s[14:15], v[66:67]
	v_mul_f64_e32 v[62:63], s[14:15], v[64:65]
	;; [unrolled: 1-line block ×3, first 2 shown]
	v_add_f64_e32 v[52:53], v[153:154], v[52:53]
	v_add_f64_e64 v[54:55], v[54:55], -v[131:132]
	v_mul_f64_e32 v[131:132], s[14:15], v[171:172]
	v_add_f64_e32 v[74:75], v[14:15], v[74:75]
	v_add_f64_e32 v[72:73], v[12:13], v[72:73]
	v_mul_f64_e32 v[153:154], s[0:1], v[171:172]
	v_add_f64_e32 v[78:79], v[14:15], v[78:79]
	v_add_f64_e32 v[76:77], v[12:13], v[76:77]
	;; [unrolled: 1-line block ×4, first 2 shown]
	v_mul_f64_e32 v[56:57], s[0:1], v[64:65]
	v_mul_f64_e32 v[58:59], s[0:1], v[163:164]
	;; [unrolled: 1-line block ×3, first 2 shown]
	v_add_f64_e32 v[60:61], v[82:83], v[60:61]
	v_add_f64_e64 v[62:63], v[62:63], -v[80:81]
	v_mul_f64_e32 v[163:164], s[10:11], v[163:164]
	v_mul_f64_e32 v[159:160], s[10:11], v[159:160]
	v_add_f64_e32 v[66:67], v[70:71], v[66:67]
	v_mul_f64_e32 v[70:71], s[16:17], v[171:172]
	v_mul_f64_e32 v[82:83], s[14:15], v[169:170]
	v_add_f64_e32 v[52:53], v[14:15], v[52:53]
	v_add_f64_e32 v[54:55], v[12:13], v[54:55]
	v_mul_f64_e32 v[80:81], s[10:11], v[169:170]
	v_add_f64_e32 v[131:132], v[135:136], v[131:132]
	v_add_f64_e32 v[72:73], v[103:104], v[72:73]
	;; [unrolled: 1-line block ×5, first 2 shown]
	v_add_f64_e64 v[48:49], v[56:57], -v[68:69]
	v_mul_f64_e32 v[68:69], s[16:17], v[169:170]
	v_add_f64_e32 v[58:59], v[145:146], v[58:59]
	v_add_f64_e64 v[64:65], v[64:65], -v[141:142]
	v_mul_f64_e32 v[56:57], s[6:7], v[171:172]
	v_mul_f64_e32 v[171:172], s[10:11], v[171:172]
	v_add_f64_e32 v[60:61], v[14:15], v[60:61]
	v_add_f64_e32 v[62:63], v[12:13], v[62:63]
	v_mul_f64_e32 v[50:51], s[6:7], v[169:170]
	v_mul_f64_e32 v[169:170], s[0:1], v[169:170]
	v_add_f64_e32 v[97:98], v[97:98], v[163:164]
	v_add_f64_e64 v[92:93], v[159:160], -v[92:93]
	v_add_f64_e32 v[14:15], v[14:15], v[66:67]
	v_mul_f64_e32 v[66:67], s[6:7], v[179:180]
	v_mul_f64_e32 v[141:142], s[0:1], v[177:178]
	v_mul_f64_e32 v[145:146], s[0:1], v[179:180]
	v_mul_f64_e32 v[159:160], s[16:17], v[177:178]
	v_mul_f64_e32 v[163:164], s[16:17], v[179:180]
	v_add_f64_e64 v[82:83], v[82:83], -v[121:122]
	v_add_f64_e32 v[70:71], v[90:91], v[70:71]
	v_add_f64_e64 v[80:81], v[80:81], -v[119:120]
	v_mul_f64_e32 v[90:91], s[10:11], v[183:184]
	v_add_f64_e32 v[42:43], v[46:47], v[42:43]
	v_add_f64_e32 v[40:41], v[44:45], v[40:41]
	;; [unrolled: 1-line block ×3, first 2 shown]
	v_mul_f64_e32 v[44:45], s[14:15], v[177:178]
	v_mul_f64_e32 v[46:47], s[14:15], v[179:180]
	;; [unrolled: 1-line block ×5, first 2 shown]
	v_add_f64_e64 v[68:69], v[68:69], -v[88:89]
	v_add_f64_e32 v[52:53], v[58:59], v[52:53]
	v_add_f64_e32 v[54:55], v[64:65], v[54:55]
	;; [unrolled: 1-line block ×8, first 2 shown]
	v_add_f64_e64 v[101:102], v[169:170], -v[101:102]
	v_add_f64_e32 v[56:57], v[86:87], v[56:57]
	v_add_f64_e64 v[50:51], v[50:51], -v[84:85]
	v_add_f64_e32 v[14:15], v[97:98], v[14:15]
	v_mul_f64_e32 v[76:77], s[0:1], v[181:182]
	v_mul_f64_e32 v[78:79], s[0:1], v[183:184]
	;; [unrolled: 1-line block ×3, first 2 shown]
	v_add_f64_e32 v[66:67], v[111:112], v[66:67]
	v_mul_f64_e32 v[84:85], s[14:15], v[181:182]
	v_mul_f64_e32 v[86:87], s[14:15], v[183:184]
	v_add_f64_e32 v[119:120], v[123:124], v[145:146]
	v_add_f64_e64 v[115:116], v[141:142], -v[115:116]
	v_mul_f64_e32 v[88:89], s[10:11], v[181:182]
	v_add_f64_e32 v[113:114], v[137:138], v[163:164]
	v_add_f64_e64 v[117:118], v[159:160], -v[129:130]
	v_add_f64_e32 v[38:39], v[42:43], v[38:39]
	v_add_f64_e32 v[36:37], v[40:41], v[36:37]
	;; [unrolled: 1-line block ×3, first 2 shown]
	v_mul_f64_e32 v[92:93], s[6:7], v[181:182]
	v_mul_f64_e32 v[40:41], s[16:17], v[181:182]
	v_add_f64_e64 v[48:49], v[48:49], -v[105:106]
	v_add_f64_e64 v[109:110], v[177:178], -v[147:148]
	v_add_f64_e32 v[103:104], v[155:156], v[179:180]
	v_add_f64_e32 v[68:69], v[68:69], v[72:73]
	;; [unrolled: 1-line block ×5, first 2 shown]
	v_mul_f64_e32 v[42:43], s[16:17], v[183:184]
	v_add_f64_e32 v[58:59], v[107:108], v[58:59]
	v_add_f64_e32 v[46:47], v[99:100], v[46:47]
	;; [unrolled: 1-line block ×5, first 2 shown]
	v_add_f64_e64 v[44:45], v[44:45], -v[94:95]
	v_add_f64_e32 v[14:15], v[56:57], v[14:15]
	v_add_f64_e64 v[76:77], v[76:77], -v[149:150]
	v_add_f64_e32 v[78:79], v[151:152], v[78:79]
	;; [unrolled: 2-line block ×4, first 2 shown]
	v_add_f64_e32 v[28:29], v[36:37], v[28:29]
	v_add_f64_e32 v[12:13], v[50:51], v[12:13]
	;; [unrolled: 1-line block ×3, first 2 shown]
	v_add_f64_e64 v[38:39], v[92:93], -v[167:168]
	v_add_f64_e32 v[50:51], v[173:174], v[90:91]
	v_add_f64_e64 v[40:41], v[40:41], -v[139:140]
	v_add_f64_e32 v[48:49], v[48:49], v[68:69]
	v_add_f64_e32 v[52:53], v[103:104], v[52:53]
	;; [unrolled: 1-line block ×25, first 2 shown]
	v_and_b32_e32 v44, 0xffff, v187
	s_delay_alu instid0(VALU_DEP_1)
	v_lshlrev_b32_e32 v44, 4, v44
	ds_store_b128 v44, v[32:35] offset:96
	ds_store_b128 v44, v[20:23] offset:112
	;; [unrolled: 1-line block ×8, first 2 shown]
	ds_store_b128 v44, v[24:27]
	ds_store_b128 v44, v[40:43] offset:16
	ds_store_b128 v44, v[0:3] offset:160
.LBB0_7:
	s_wait_alu 0xfffe
	s_or_b32 exec_lo, exec_lo, s18
	v_add_co_u32 v56, null, 0x63, v186
	v_and_b32_e32 v81, 0xff, v186
	s_load_b128 s[0:3], s[2:3], 0x0
	global_wb scope:SCOPE_SE
	s_wait_dscnt 0x0
	v_and_b32_e32 v12, 0xff, v56
	s_wait_kmcnt 0x0
	s_barrier_signal -1
	v_mul_lo_u16 v13, 0x75, v81
	s_barrier_wait -1
	global_inv scope:SCOPE_SE
	v_mul_lo_u16 v12, 0x75, v12
	v_and_b32_e32 v36, 0xffff, v186
	v_lshrrev_b16 v13, 8, v13
	s_mov_b32 s6, 0xe8584caa
	s_mov_b32 s7, 0x3febb67a
	v_lshrrev_b16 v12, 8, v12
	v_lshlrev_b32_e32 v97, 4, v36
	v_sub_nc_u16 v14, v186, v13
	s_mov_b32 s11, 0xbfebb67a
	s_wait_alu 0xfffe
	s_mov_b32 s10, s6
	v_sub_nc_u16 v15, v56, v12
	v_lshrrev_b16 v14, 1, v14
	s_delay_alu instid0(VALU_DEP_2) | instskip(NEXT) | instid1(VALU_DEP_2)
	v_lshrrev_b16 v15, 1, v15
	v_and_b32_e32 v14, 0x7f, v14
	s_delay_alu instid0(VALU_DEP_2) | instskip(NEXT) | instid1(VALU_DEP_2)
	v_and_b32_e32 v15, 0x7f, v15
	v_add_nc_u16 v13, v14, v13
	s_delay_alu instid0(VALU_DEP_2) | instskip(NEXT) | instid1(VALU_DEP_2)
	v_add_nc_u16 v12, v15, v12
	v_lshrrev_b16 v82, 3, v13
	s_delay_alu instid0(VALU_DEP_2) | instskip(NEXT) | instid1(VALU_DEP_2)
	v_lshrrev_b16 v83, 3, v12
	v_mul_lo_u16 v12, v82, 11
	s_delay_alu instid0(VALU_DEP_2) | instskip(NEXT) | instid1(VALU_DEP_2)
	v_mul_lo_u16 v13, v83, 11
	v_sub_nc_u16 v12, v186, v12
	s_delay_alu instid0(VALU_DEP_2) | instskip(NEXT) | instid1(VALU_DEP_2)
	v_sub_nc_u16 v13, v56, v13
	v_and_b32_e32 v84, 0xff, v12
	s_delay_alu instid0(VALU_DEP_2) | instskip(NEXT) | instid1(VALU_DEP_2)
	v_and_b32_e32 v85, 0xff, v13
	v_lshlrev_b32_e32 v12, 5, v84
	s_delay_alu instid0(VALU_DEP_2)
	v_lshlrev_b32_e32 v24, 5, v85
	s_clause 0x3
	global_load_b128 v[16:19], v12, s[4:5]
	global_load_b128 v[12:15], v12, s[4:5] offset:16
	global_load_b128 v[28:31], v24, s[4:5]
	global_load_b128 v[24:27], v24, s[4:5] offset:16
	ds_load_b128 v[36:39], v97 offset:3168
	ds_load_b128 v[40:43], v97 offset:6336
	;; [unrolled: 1-line block ×4, first 2 shown]
	s_wait_loadcnt_dscnt 0x303
	v_mul_f64_e32 v[52:53], v[38:39], v[18:19]
	s_wait_loadcnt_dscnt 0x202
	v_mul_f64_e32 v[54:55], v[42:43], v[14:15]
	v_mul_f64_e32 v[57:58], v[36:37], v[18:19]
	;; [unrolled: 1-line block ×3, first 2 shown]
	s_wait_loadcnt_dscnt 0x101
	v_mul_f64_e32 v[61:62], v[46:47], v[30:31]
	s_wait_loadcnt_dscnt 0x0
	v_mul_f64_e32 v[63:64], v[50:51], v[26:27]
	v_mul_f64_e32 v[65:66], v[44:45], v[30:31]
	;; [unrolled: 1-line block ×3, first 2 shown]
	v_fma_f64 v[52:53], v[36:37], v[16:17], -v[52:53]
	v_fma_f64 v[54:55], v[40:41], v[12:13], -v[54:55]
	v_fma_f64 v[57:58], v[38:39], v[16:17], v[57:58]
	v_fma_f64 v[59:60], v[42:43], v[12:13], v[59:60]
	v_fma_f64 v[44:45], v[44:45], v[28:29], -v[61:62]
	v_fma_f64 v[48:49], v[48:49], v[24:25], -v[63:64]
	v_fma_f64 v[46:47], v[46:47], v[28:29], v[65:66]
	v_fma_f64 v[50:51], v[50:51], v[24:25], v[67:68]
	ds_load_b128 v[36:39], v97
	ds_load_b128 v[40:43], v97 offset:1584
	global_wb scope:SCOPE_SE
	s_wait_dscnt 0x0
	s_barrier_signal -1
	s_barrier_wait -1
	global_inv scope:SCOPE_SE
	v_add_f64_e32 v[69:70], v[36:37], v[52:53]
	v_add_f64_e32 v[61:62], v[52:53], v[54:55]
	v_add_f64_e64 v[52:53], v[52:53], -v[54:55]
	v_add_f64_e32 v[63:64], v[57:58], v[59:60]
	v_add_f64_e64 v[71:72], v[57:58], -v[59:60]
	v_add_f64_e32 v[65:66], v[44:45], v[48:49]
	v_add_f64_e32 v[57:58], v[38:39], v[57:58]
	;; [unrolled: 1-line block ×5, first 2 shown]
	v_add_f64_e64 v[77:78], v[46:47], -v[50:51]
	v_add_f64_e64 v[79:80], v[44:45], -v[48:49]
	v_fma_f64 v[61:62], v[61:62], -0.5, v[36:37]
	v_add_f64_e32 v[36:37], v[69:70], v[54:55]
	v_fma_f64 v[63:64], v[63:64], -0.5, v[38:39]
	v_fma_f64 v[65:66], v[65:66], -0.5, v[40:41]
	v_add_f64_e32 v[38:39], v[57:58], v[59:60]
	v_fma_f64 v[67:68], v[67:68], -0.5, v[42:43]
	v_add_f64_e32 v[40:41], v[73:74], v[48:49]
	v_add_f64_e32 v[42:43], v[75:76], v[50:51]
	v_fma_f64 v[44:45], v[71:72], s[6:7], v[61:62]
	s_wait_alu 0xfffe
	v_fma_f64 v[48:49], v[71:72], s[10:11], v[61:62]
	v_fma_f64 v[46:47], v[52:53], s[10:11], v[63:64]
	;; [unrolled: 1-line block ×7, first 2 shown]
	v_mul_lo_u16 v61, 0xf9, v81
	v_and_b32_e32 v62, 0xffff, v82
	v_and_b32_e32 v63, 0xffff, v83
	s_delay_alu instid0(VALU_DEP_3) | instskip(NEXT) | instid1(VALU_DEP_3)
	v_lshrrev_b16 v95, 13, v61
	v_mul_u32_u24_e32 v64, 33, v62
	s_delay_alu instid0(VALU_DEP_3) | instskip(NEXT) | instid1(VALU_DEP_3)
	v_mul_u32_u24_e32 v63, 33, v63
	v_mul_lo_u16 v61, v95, 33
	s_delay_alu instid0(VALU_DEP_3) | instskip(NEXT) | instid1(VALU_DEP_3)
	v_add_lshl_u32 v99, v64, v84, 4
	v_add_lshl_u32 v98, v63, v85, 4
	ds_store_b128 v99, v[36:39]
	ds_store_b128 v99, v[44:47] offset:176
	ds_store_b128 v99, v[48:51] offset:352
	ds_store_b128 v98, v[40:43]
	ds_store_b128 v98, v[52:55] offset:176
	ds_store_b128 v98, v[57:60] offset:352
	v_sub_nc_u16 v61, v186, v61
	global_wb scope:SCOPE_SE
	s_wait_dscnt 0x0
	s_barrier_signal -1
	s_barrier_wait -1
	global_inv scope:SCOPE_SE
	v_and_b32_e32 v102, 0xff, v61
	s_delay_alu instid0(VALU_DEP_1)
	v_mad_co_u64_u32 v[61:62], null, 0x50, v102, s[4:5]
	s_clause 0x4
	global_load_b128 v[36:39], v[61:62], off offset:384
	global_load_b128 v[52:55], v[61:62], off offset:416
	;; [unrolled: 1-line block ×5, first 2 shown]
	ds_load_b128 v[57:60], v97 offset:4752
	ds_load_b128 v[61:64], v97 offset:7920
	ds_load_b128 v[65:68], v97 offset:1584
	s_wait_loadcnt_dscnt 0x402
	v_mul_f64_e32 v[69:70], v[59:60], v[38:39]
	v_mul_f64_e32 v[71:72], v[57:58], v[38:39]
	s_wait_loadcnt_dscnt 0x301
	v_mul_f64_e32 v[73:74], v[61:62], v[54:55]
	v_mul_f64_e32 v[75:76], v[63:64], v[54:55]
	;; [unrolled: 3-line block ×3, first 2 shown]
	v_fma_f64 v[69:70], v[57:58], v[36:37], -v[69:70]
	v_fma_f64 v[71:72], v[59:60], v[36:37], v[71:72]
	v_fma_f64 v[73:74], v[63:64], v[52:53], v[73:74]
	v_fma_f64 v[75:76], v[61:62], v[52:53], -v[75:76]
	ds_load_b128 v[57:60], v97 offset:3168
	ds_load_b128 v[61:64], v97 offset:6336
	v_fma_f64 v[65:66], v[65:66], v[40:41], -v[77:78]
	v_fma_f64 v[67:68], v[67:68], v[40:41], v[79:80]
	s_wait_loadcnt_dscnt 0x101
	v_mul_f64_e32 v[81:82], v[59:60], v[50:51]
	v_mul_f64_e32 v[83:84], v[57:58], v[50:51]
	s_wait_loadcnt_dscnt 0x0
	v_mul_f64_e32 v[85:86], v[63:64], v[46:47]
	v_mul_f64_e32 v[87:88], v[61:62], v[46:47]
	v_add_f64_e32 v[77:78], v[71:72], v[73:74]
	v_add_f64_e32 v[79:80], v[69:70], v[75:76]
	v_fma_f64 v[81:82], v[57:58], v[48:49], -v[81:82]
	v_fma_f64 v[83:84], v[59:60], v[48:49], v[83:84]
	v_fma_f64 v[61:62], v[61:62], v[44:45], -v[85:86]
	v_fma_f64 v[63:64], v[63:64], v[44:45], v[87:88]
	v_add_f64_e64 v[57:58], v[71:72], -v[73:74]
	v_add_f64_e64 v[59:60], v[69:70], -v[75:76]
	v_fma_f64 v[77:78], v[77:78], -0.5, v[67:68]
	v_fma_f64 v[79:80], v[79:80], -0.5, v[65:66]
	v_add_f64_e32 v[65:66], v[65:66], v[69:70]
	v_add_f64_e32 v[67:68], v[67:68], v[71:72]
	;; [unrolled: 1-line block ×4, first 2 shown]
	v_add_f64_e64 v[100:101], v[83:84], -v[63:64]
	v_add_f64_e64 v[69:70], v[81:82], -v[61:62]
	v_fma_f64 v[89:90], v[59:60], s[10:11], v[77:78]
	v_fma_f64 v[91:92], v[57:58], s[10:11], v[79:80]
	;; [unrolled: 1-line block ×4, first 2 shown]
	ds_load_b128 v[57:60], v97
	v_add_f64_e32 v[65:66], v[65:66], v[75:76]
	v_add_f64_e32 v[67:68], v[67:68], v[73:74]
	global_wb scope:SCOPE_SE
	s_wait_dscnt 0x0
	s_barrier_signal -1
	s_barrier_wait -1
	global_inv scope:SCOPE_SE
	v_add_f64_e32 v[93:94], v[57:58], v[81:82]
	v_add_f64_e32 v[83:84], v[59:60], v[83:84]
	v_fma_f64 v[57:58], v[85:86], -0.5, v[57:58]
	v_fma_f64 v[59:60], v[87:88], -0.5, v[59:60]
	v_mul_f64_e32 v[71:72], s[6:7], v[89:90]
	v_mul_f64_e32 v[81:82], -0.5, v[91:92]
	v_mul_f64_e32 v[85:86], s[10:11], v[79:80]
	v_mul_f64_e32 v[87:88], -0.5, v[77:78]
	v_add_f64_e32 v[61:62], v[93:94], v[61:62]
	v_add_f64_e32 v[63:64], v[83:84], v[63:64]
	v_fma_f64 v[73:74], v[100:101], s[6:7], v[57:58]
	v_fma_f64 v[83:84], v[69:70], s[10:11], v[59:60]
	;; [unrolled: 1-line block ×4, first 2 shown]
	v_fma_f64 v[79:80], v[79:80], 0.5, v[71:72]
	v_fma_f64 v[77:78], v[77:78], s[6:7], v[81:82]
	v_fma_f64 v[81:82], v[89:90], 0.5, v[85:86]
	v_fma_f64 v[85:86], v[91:92], s[10:11], v[87:88]
	v_add_f64_e32 v[57:58], v[61:62], v[65:66]
	v_add_f64_e32 v[59:60], v[63:64], v[67:68]
	v_add_f64_e64 v[61:62], v[61:62], -v[65:66]
	v_add_f64_e64 v[63:64], v[63:64], -v[67:68]
	v_add_f64_e32 v[65:66], v[73:74], v[79:80]
	v_add_f64_e32 v[69:70], v[75:76], v[77:78]
	;; [unrolled: 1-line block ×4, first 2 shown]
	v_add_f64_e64 v[73:74], v[73:74], -v[79:80]
	v_add_f64_e64 v[77:78], v[75:76], -v[77:78]
	v_add_f64_e64 v[75:76], v[83:84], -v[81:82]
	v_add_f64_e64 v[79:80], v[93:94], -v[85:86]
	v_and_b32_e32 v81, 0xffff, v95
	v_lshlrev_b32_e32 v82, 5, v186
	v_lshlrev_b32_e32 v83, 5, v56
	s_delay_alu instid0(VALU_DEP_3) | instskip(NEXT) | instid1(VALU_DEP_1)
	v_mul_u32_u24_e32 v81, 0xc6, v81
	v_add_lshl_u32 v100, v81, v102, 4
	ds_store_b128 v100, v[57:60]
	ds_store_b128 v100, v[65:68] offset:528
	ds_store_b128 v100, v[69:72] offset:1056
	;; [unrolled: 1-line block ×5, first 2 shown]
	global_wb scope:SCOPE_SE
	s_wait_dscnt 0x0
	s_barrier_signal -1
	s_barrier_wait -1
	global_inv scope:SCOPE_SE
	s_clause 0x3
	global_load_b128 v[60:63], v82, s[4:5] offset:2992
	global_load_b128 v[56:59], v82, s[4:5] offset:3008
	;; [unrolled: 1-line block ×4, first 2 shown]
	ds_load_b128 v[72:75], v97 offset:3168
	ds_load_b128 v[76:79], v97 offset:6336
	;; [unrolled: 1-line block ×4, first 2 shown]
	s_wait_loadcnt_dscnt 0x303
	v_mul_f64_e32 v[88:89], v[74:75], v[62:63]
	v_mul_f64_e32 v[90:91], v[72:73], v[62:63]
	s_wait_loadcnt_dscnt 0x202
	v_mul_f64_e32 v[92:93], v[78:79], v[58:59]
	v_mul_f64_e32 v[94:95], v[76:77], v[58:59]
	;; [unrolled: 3-line block ×4, first 2 shown]
	v_fma_f64 v[88:89], v[72:73], v[60:61], -v[88:89]
	v_fma_f64 v[90:91], v[74:75], v[60:61], v[90:91]
	v_fma_f64 v[92:93], v[76:77], v[56:57], -v[92:93]
	v_fma_f64 v[94:95], v[78:79], v[56:57], v[94:95]
	;; [unrolled: 2-line block ×4, first 2 shown]
	ds_load_b128 v[72:75], v97
	ds_load_b128 v[76:79], v97 offset:1584
	s_wait_dscnt 0x1
	v_add_f64_e32 v[109:110], v[72:73], v[88:89]
	v_add_f64_e32 v[101:102], v[88:89], v[92:93]
	;; [unrolled: 1-line block ×3, first 2 shown]
	v_add_f64_e64 v[111:112], v[90:91], -v[94:95]
	v_add_f64_e32 v[90:91], v[74:75], v[90:91]
	v_add_f64_e32 v[105:106], v[80:81], v[84:85]
	;; [unrolled: 1-line block ×3, first 2 shown]
	v_add_f64_e64 v[88:89], v[88:89], -v[92:93]
	s_wait_dscnt 0x0
	v_add_f64_e32 v[113:114], v[76:77], v[80:81]
	v_add_f64_e32 v[115:116], v[78:79], v[82:83]
	v_add_f64_e64 v[117:118], v[82:83], -v[86:87]
	v_fma_f64 v[101:102], v[101:102], -0.5, v[72:73]
	v_fma_f64 v[82:83], v[103:104], -0.5, v[74:75]
	v_add_f64_e64 v[103:104], v[80:81], -v[84:85]
	v_add_f64_e32 v[72:73], v[109:110], v[92:93]
	v_fma_f64 v[105:106], v[105:106], -0.5, v[76:77]
	v_fma_f64 v[107:108], v[107:108], -0.5, v[78:79]
	v_add_f64_e32 v[74:75], v[90:91], v[94:95]
	v_add_f64_e32 v[84:85], v[113:114], v[84:85]
	;; [unrolled: 1-line block ×3, first 2 shown]
	v_fma_f64 v[76:77], v[111:112], s[6:7], v[101:102]
	v_fma_f64 v[80:81], v[111:112], s[10:11], v[101:102]
	;; [unrolled: 1-line block ×8, first 2 shown]
	ds_store_b128 v97, v[72:75]
	ds_store_b128 v97, v[84:87] offset:1584
	ds_store_b128 v97, v[76:79] offset:3168
	ds_store_b128 v97, v[88:91] offset:4752
	ds_store_b128 v97, v[80:83] offset:6336
	ds_store_b128 v97, v[92:95] offset:7920
	global_wb scope:SCOPE_SE
	s_wait_dscnt 0x0
	s_barrier_signal -1
	s_barrier_wait -1
	global_inv scope:SCOPE_SE
	s_and_saveexec_b32 s6, vcc_lo
	s_cbranch_execz .LBB0_9
; %bb.8:
	global_load_b128 v[101:104], v185, s[12:13] offset:9504
	s_add_nc_u64 s[4:5], s[12:13], 0x2520
	s_clause 0x9
	global_load_b128 v[105:108], v185, s[4:5] offset:864
	global_load_b128 v[109:112], v185, s[4:5] offset:1728
	;; [unrolled: 1-line block ×10, first 2 shown]
	ds_load_b128 v[145:148], v97
	s_wait_loadcnt_dscnt 0xa00
	v_mul_f64_e32 v[149:150], v[147:148], v[103:104]
	v_mul_f64_e32 v[103:104], v[145:146], v[103:104]
	s_delay_alu instid0(VALU_DEP_2) | instskip(NEXT) | instid1(VALU_DEP_2)
	v_fma_f64 v[145:146], v[145:146], v[101:102], -v[149:150]
	v_fma_f64 v[147:148], v[147:148], v[101:102], v[103:104]
	ds_store_b128 v97, v[145:148]
	ds_load_b128 v[101:104], v185 offset:864
	ds_load_b128 v[145:148], v185 offset:1728
	;; [unrolled: 1-line block ×10, first 2 shown]
	s_wait_loadcnt_dscnt 0x909
	v_mul_f64_e32 v[181:182], v[103:104], v[107:108]
	v_mul_f64_e32 v[107:108], v[101:102], v[107:108]
	s_wait_loadcnt_dscnt 0x808
	v_mul_f64_e32 v[183:184], v[147:148], v[111:112]
	v_mul_f64_e32 v[111:112], v[145:146], v[111:112]
	;; [unrolled: 3-line block ×10, first 2 shown]
	v_fma_f64 v[101:102], v[101:102], v[105:106], -v[181:182]
	v_fma_f64 v[103:104], v[103:104], v[105:106], v[107:108]
	v_fma_f64 v[105:106], v[145:146], v[109:110], -v[183:184]
	v_fma_f64 v[107:108], v[147:148], v[109:110], v[111:112]
	;; [unrolled: 2-line block ×10, first 2 shown]
	ds_store_b128 v185, v[101:104] offset:864
	ds_store_b128 v185, v[105:108] offset:1728
	;; [unrolled: 1-line block ×10, first 2 shown]
.LBB0_9:
	s_wait_alu 0xfffe
	s_or_b32 exec_lo, exec_lo, s6
	global_wb scope:SCOPE_SE
	s_wait_dscnt 0x0
	s_barrier_signal -1
	s_barrier_wait -1
	global_inv scope:SCOPE_SE
	s_and_saveexec_b32 s4, vcc_lo
	s_cbranch_execz .LBB0_11
; %bb.10:
	ds_load_b128 v[72:75], v97
	ds_load_b128 v[76:79], v97 offset:864
	ds_load_b128 v[80:83], v97 offset:1728
	;; [unrolled: 1-line block ×10, first 2 shown]
.LBB0_11:
	s_wait_alu 0xfffe
	s_or_b32 exec_lo, exec_lo, s4
	global_wb scope:SCOPE_SE
	s_wait_dscnt 0x0
	s_barrier_signal -1
	s_barrier_wait -1
	global_inv scope:SCOPE_SE
	s_and_saveexec_b32 s33, vcc_lo
	s_cbranch_execz .LBB0_13
; %bb.12:
	v_add_f64_e32 v[101:102], v[74:75], v[78:79]
	v_add_f64_e32 v[103:104], v[72:73], v[76:77]
	v_add_f64_e64 v[105:106], v[92:93], -v[32:33]
	v_add_f64_e32 v[107:108], v[94:95], v[34:35]
	v_add_f64_e32 v[109:110], v[88:89], v[20:21]
	v_add_f64_e64 v[111:112], v[86:87], -v[10:11]
	v_add_f64_e32 v[113:114], v[86:87], v[10:11]
	v_add_f64_e32 v[115:116], v[84:85], v[8:9]
	;; [unrolled: 1-line block ×4, first 2 shown]
	s_mov_b32 s27, 0x3fed1bb4
	s_mov_b32 s26, 0x8eee2c13
	;; [unrolled: 1-line block ×11, first 2 shown]
	s_wait_alu 0xfffe
	s_mov_b32 s28, s16
	s_mov_b32 s10, 0x640f44db
	s_mov_b32 s14, 0xd9c712b6
	s_mov_b32 s6, 0x7f775887
	s_mov_b32 s4, 0x9bcd5057
	s_mov_b32 s18, 0x8764f0ba
	s_mov_b32 s11, 0xbfc2375f
	s_mov_b32 s15, 0x3fda9628
	s_mov_b32 s7, 0xbfe4f49e
	s_mov_b32 s5, 0xbfeeb42a
	s_mov_b32 s19, 0x3feaeb8c
	s_mov_b32 s31, 0x3fefac9e
	s_mov_b32 s30, s24
	s_mov_b32 s35, 0x3fd207e7
	s_mov_b32 s34, s22
	v_add_f64_e32 v[101:102], v[101:102], v[82:83]
	v_add_f64_e32 v[103:104], v[103:104], v[80:81]
	s_delay_alu instid0(VALU_DEP_2) | instskip(NEXT) | instid1(VALU_DEP_2)
	v_add_f64_e32 v[101:102], v[101:102], v[86:87]
	v_add_f64_e32 v[103:104], v[103:104], v[84:85]
	v_add_f64_e64 v[86:87], v[82:83], -v[6:7]
	v_mul_f64_e32 v[82:83], s[26:27], v[111:112]
	s_delay_alu instid0(VALU_DEP_4) | instskip(NEXT) | instid1(VALU_DEP_4)
	v_add_f64_e32 v[101:102], v[101:102], v[90:91]
	v_add_f64_e32 v[103:104], v[103:104], v[88:89]
	s_delay_alu instid0(VALU_DEP_2) | instskip(NEXT) | instid1(VALU_DEP_2)
	v_add_f64_e32 v[101:102], v[101:102], v[94:95]
	v_add_f64_e32 v[103:104], v[103:104], v[92:93]
	v_add_f64_e64 v[94:95], v[94:95], -v[34:35]
	v_add_f64_e32 v[92:93], v[92:93], v[32:33]
	s_delay_alu instid0(VALU_DEP_4) | instskip(NEXT) | instid1(VALU_DEP_4)
	v_add_f64_e32 v[34:35], v[101:102], v[34:35]
	v_add_f64_e32 v[32:33], v[103:104], v[32:33]
	v_add_f64_e64 v[101:102], v[88:89], -v[20:21]
	v_add_f64_e32 v[103:104], v[90:91], v[22:23]
	v_add_f64_e64 v[90:91], v[90:91], -v[22:23]
	v_add_f64_e64 v[88:89], v[84:85], -v[8:9]
	;; [unrolled: 1-line block ×3, first 2 shown]
	v_mul_f64_e32 v[157:158], s[24:25], v[94:95]
	v_add_f64_e32 v[22:23], v[34:35], v[22:23]
	v_add_f64_e32 v[20:21], v[32:33], v[20:21]
	v_mul_f64_e32 v[32:33], s[26:27], v[101:102]
	v_mul_f64_e32 v[34:35], s[26:27], v[90:91]
	;; [unrolled: 1-line block ×3, first 2 shown]
	v_add_f64_e32 v[10:11], v[22:23], v[10:11]
	v_add_f64_e32 v[8:9], v[20:21], v[8:9]
	;; [unrolled: 1-line block ×4, first 2 shown]
	s_delay_alu instid0(VALU_DEP_4) | instskip(NEXT) | instid1(VALU_DEP_4)
	v_add_f64_e32 v[6:7], v[10:11], v[6:7]
	v_add_f64_e32 v[4:5], v[8:9], v[4:5]
	v_add_f64_e64 v[8:9], v[76:77], -v[0:1]
	v_add_f64_e64 v[10:11], v[78:79], -v[2:3]
	v_mul_f64_e32 v[76:77], s[26:27], v[105:106]
	v_mul_f64_e32 v[78:79], s[26:27], v[94:95]
	s_mov_b32 s27, 0xbfed1bb4
	v_add_f64_e32 v[2:3], v[6:7], v[2:3]
	v_add_f64_e32 v[0:1], v[4:5], v[0:1]
	v_mul_f64_e32 v[4:5], s[22:23], v[8:9]
	v_mul_f64_e32 v[6:7], s[20:21], v[8:9]
	;; [unrolled: 1-line block ×3, first 2 shown]
	s_wait_alu 0xfffe
	v_mul_f64_e32 v[123:124], s[28:29], v[8:9]
	v_mul_f64_e32 v[8:9], s[26:27], v[8:9]
	;; [unrolled: 1-line block ×5, first 2 shown]
	v_fma_f64 v[125:126], v[20:21], s[4:5], v[4:5]
	v_fma_f64 v[4:5], v[20:21], s[4:5], -v[4:5]
	v_fma_f64 v[127:128], v[20:21], s[6:7], v[6:7]
	v_fma_f64 v[6:7], v[20:21], s[6:7], -v[6:7]
	;; [unrolled: 2-line block ×4, first 2 shown]
	v_fma_f64 v[133:134], v[20:21], s[14:15], -v[8:9]
	v_fma_f64 v[8:9], v[20:21], s[14:15], v[8:9]
	v_mul_f64_e32 v[20:21], s[22:23], v[10:11]
	v_mul_f64_e32 v[10:11], s[26:27], v[10:11]
	v_fma_f64 v[143:144], v[22:23], s[6:7], -v[135:136]
	v_fma_f64 v[135:136], v[22:23], s[6:7], v[135:136]
	v_fma_f64 v[145:146], v[22:23], s[10:11], -v[137:138]
	v_fma_f64 v[137:138], v[22:23], s[10:11], v[137:138]
	v_fma_f64 v[147:148], v[22:23], s[18:19], v[139:140]
	v_fma_f64 v[139:140], v[22:23], s[18:19], -v[139:140]
	v_add_f64_e32 v[127:128], v[74:75], v[127:128]
	v_add_f64_e32 v[151:152], v[74:75], v[6:7]
	;; [unrolled: 1-line block ×8, first 2 shown]
	v_fma_f64 v[141:142], v[22:23], s[4:5], -v[20:21]
	v_mul_f64_e32 v[8:9], s[16:17], v[84:85]
	v_fma_f64 v[20:21], v[22:23], s[4:5], v[20:21]
	v_fma_f64 v[149:150], v[22:23], s[14:15], v[10:11]
	v_fma_f64 v[10:11], v[22:23], s[14:15], -v[10:11]
	v_add_f64_e32 v[22:23], v[74:75], v[125:126]
	v_add_f64_e32 v[143:144], v[72:73], v[143:144]
	;; [unrolled: 1-line block ×9, first 2 shown]
	v_fma_f64 v[4:5], v[117:118], s[18:19], v[8:9]
	v_add_f64_e32 v[20:21], v[72:73], v[20:21]
	v_add_f64_e32 v[155:156], v[72:73], v[10:11]
	v_mul_f64_e32 v[10:11], s[16:17], v[86:87]
	v_add_f64_e32 v[149:150], v[72:73], v[149:150]
	v_fma_f64 v[8:9], v[117:118], s[18:19], -v[8:9]
	v_add_f64_e32 v[4:5], v[4:5], v[22:23]
	v_mul_f64_e32 v[22:23], s[20:21], v[88:89]
	v_fma_f64 v[6:7], v[119:120], s[18:19], -v[10:11]
	v_fma_f64 v[10:11], v[119:120], s[18:19], v[10:11]
	v_add_f64_e32 v[8:9], v[8:9], v[141:142]
	s_delay_alu instid0(VALU_DEP_4) | instskip(NEXT) | instid1(VALU_DEP_4)
	v_fma_f64 v[72:73], v[113:114], s[6:7], v[22:23]
	v_add_f64_e32 v[6:7], v[6:7], v[125:126]
	s_delay_alu instid0(VALU_DEP_4)
	v_add_f64_e32 v[10:11], v[10:11], v[20:21]
	v_fma_f64 v[20:21], v[113:114], s[6:7], -v[22:23]
	v_mul_f64_e32 v[125:126], s[24:25], v[105:106]
	v_fma_f64 v[22:23], v[92:93], s[10:11], v[157:158]
	v_add_f64_e32 v[4:5], v[72:73], v[4:5]
	v_mul_f64_e32 v[72:73], s[20:21], v[111:112]
	v_add_f64_e32 v[8:9], v[20:21], v[8:9]
	s_delay_alu instid0(VALU_DEP_2) | instskip(SKIP_2) | instid1(VALU_DEP_3)
	v_fma_f64 v[74:75], v[115:116], s[6:7], -v[72:73]
	v_fma_f64 v[20:21], v[115:116], s[6:7], v[72:73]
	v_mul_f64_e32 v[72:73], s[28:29], v[88:89]
	v_add_f64_e32 v[6:7], v[74:75], v[6:7]
	v_fma_f64 v[74:75], v[103:104], s[14:15], v[32:33]
	s_delay_alu instid0(VALU_DEP_4) | instskip(SKIP_2) | instid1(VALU_DEP_4)
	v_add_f64_e32 v[10:11], v[20:21], v[10:11]
	v_fma_f64 v[20:21], v[103:104], s[14:15], -v[32:33]
	v_mul_f64_e32 v[32:33], s[30:31], v[84:85]
	v_add_f64_e32 v[4:5], v[74:75], v[4:5]
	v_fma_f64 v[74:75], v[109:110], s[14:15], -v[34:35]
	s_delay_alu instid0(VALU_DEP_4) | instskip(SKIP_2) | instid1(VALU_DEP_4)
	v_add_f64_e32 v[8:9], v[20:21], v[8:9]
	v_fma_f64 v[20:21], v[109:110], s[14:15], v[34:35]
	v_mul_f64_e32 v[34:35], s[30:31], v[86:87]
	v_add_f64_e32 v[74:75], v[74:75], v[6:7]
	v_fma_f64 v[6:7], v[107:108], s[10:11], v[125:126]
	s_delay_alu instid0(VALU_DEP_4) | instskip(SKIP_1) | instid1(VALU_DEP_3)
	v_add_f64_e32 v[20:21], v[20:21], v[10:11]
	v_fma_f64 v[10:11], v[107:108], s[10:11], -v[125:126]
	v_add_f64_e32 v[6:7], v[6:7], v[4:5]
	v_fma_f64 v[4:5], v[92:93], s[10:11], -v[157:158]
	s_delay_alu instid0(VALU_DEP_3)
	v_add_f64_e32 v[10:11], v[10:11], v[8:9]
	v_add_f64_e32 v[8:9], v[22:23], v[20:21]
	v_fma_f64 v[20:21], v[117:118], s[10:11], v[32:33]
	v_fma_f64 v[22:23], v[119:120], s[10:11], -v[34:35]
	v_fma_f64 v[32:33], v[117:118], s[10:11], -v[32:33]
	v_fma_f64 v[34:35], v[119:120], s[10:11], v[34:35]
	v_add_f64_e32 v[4:5], v[4:5], v[74:75]
	v_fma_f64 v[74:75], v[113:114], s[18:19], v[72:73]
	v_fma_f64 v[72:73], v[113:114], s[18:19], -v[72:73]
	v_add_f64_e32 v[20:21], v[20:21], v[127:128]
	v_add_f64_e32 v[22:23], v[22:23], v[143:144]
	v_add_f64_e32 v[32:33], v[32:33], v[151:152]
	v_add_f64_e32 v[34:35], v[34:35], v[135:136]
	v_mul_f64_e32 v[135:136], s[20:21], v[105:106]
	v_mul_f64_e32 v[143:144], s[22:23], v[94:95]
	v_add_f64_e32 v[20:21], v[74:75], v[20:21]
	v_mul_f64_e32 v[74:75], s[28:29], v[111:112]
	v_add_f64_e32 v[32:33], v[72:73], v[32:33]
	s_delay_alu instid0(VALU_DEP_2) | instskip(SKIP_2) | instid1(VALU_DEP_3)
	v_fma_f64 v[125:126], v[115:116], s[18:19], -v[74:75]
	v_fma_f64 v[72:73], v[115:116], s[18:19], v[74:75]
	v_fma_f64 v[74:75], v[92:93], s[14:15], v[78:79]
	v_add_f64_e32 v[22:23], v[125:126], v[22:23]
	v_mul_f64_e32 v[125:126], s[22:23], v[101:102]
	s_delay_alu instid0(VALU_DEP_4) | instskip(NEXT) | instid1(VALU_DEP_2)
	v_add_f64_e32 v[34:35], v[72:73], v[34:35]
	v_fma_f64 v[127:128], v[103:104], s[4:5], v[125:126]
	v_fma_f64 v[72:73], v[103:104], s[4:5], -v[125:126]
	v_fma_f64 v[125:126], v[113:114], s[14:15], v[80:81]
	v_fma_f64 v[80:81], v[113:114], s[14:15], -v[80:81]
	s_delay_alu instid0(VALU_DEP_4) | instskip(SKIP_2) | instid1(VALU_DEP_2)
	v_add_f64_e32 v[20:21], v[127:128], v[20:21]
	v_mul_f64_e32 v[127:128], s[22:23], v[90:91]
	v_add_f64_e32 v[32:33], v[72:73], v[32:33]
	v_fma_f64 v[141:142], v[109:110], s[4:5], -v[127:128]
	v_fma_f64 v[72:73], v[109:110], s[4:5], v[127:128]
	s_delay_alu instid0(VALU_DEP_2) | instskip(SKIP_1) | instid1(VALU_DEP_3)
	v_add_f64_e32 v[141:142], v[141:142], v[22:23]
	v_fma_f64 v[22:23], v[107:108], s[14:15], v[76:77]
	v_add_f64_e32 v[72:73], v[72:73], v[34:35]
	v_fma_f64 v[34:35], v[107:108], s[14:15], -v[76:77]
	v_mul_f64_e32 v[76:77], s[34:35], v[84:85]
	s_delay_alu instid0(VALU_DEP_4) | instskip(SKIP_1) | instid1(VALU_DEP_4)
	v_add_f64_e32 v[22:23], v[22:23], v[20:21]
	v_fma_f64 v[20:21], v[92:93], s[14:15], -v[78:79]
	v_add_f64_e32 v[34:35], v[34:35], v[32:33]
	v_add_f64_e32 v[32:33], v[74:75], v[72:73]
	v_fma_f64 v[72:73], v[117:118], s[4:5], v[76:77]
	v_mul_f64_e32 v[78:79], s[34:35], v[86:87]
	v_fma_f64 v[76:77], v[117:118], s[4:5], -v[76:77]
	v_add_f64_e32 v[20:21], v[20:21], v[141:142]
	v_mul_f64_e32 v[141:142], s[20:21], v[94:95]
	v_mul_f64_e32 v[94:95], s[16:17], v[94:95]
	v_add_f64_e32 v[72:73], v[72:73], v[129:130]
	v_fma_f64 v[74:75], v[119:120], s[4:5], -v[78:79]
	v_add_f64_e32 v[76:77], v[76:77], v[121:122]
	v_fma_f64 v[78:79], v[119:120], s[4:5], v[78:79]
	v_mul_f64_e32 v[121:122], s[26:27], v[84:85]
	v_add_f64_e32 v[72:73], v[125:126], v[72:73]
	v_add_f64_e32 v[74:75], v[74:75], v[145:146]
	v_fma_f64 v[125:126], v[115:116], s[14:15], -v[82:83]
	v_add_f64_e32 v[78:79], v[78:79], v[137:138]
	v_add_f64_e32 v[76:77], v[80:81], v[76:77]
	v_fma_f64 v[80:81], v[115:116], s[14:15], v[82:83]
	v_fma_f64 v[82:83], v[92:93], s[6:7], v[141:142]
	v_add_f64_e32 v[74:75], v[125:126], v[74:75]
	v_mul_f64_e32 v[125:126], s[28:29], v[101:102]
	s_delay_alu instid0(VALU_DEP_4) | instskip(NEXT) | instid1(VALU_DEP_2)
	v_add_f64_e32 v[78:79], v[80:81], v[78:79]
	v_fma_f64 v[127:128], v[103:104], s[18:19], v[125:126]
	v_fma_f64 v[80:81], v[103:104], s[18:19], -v[125:126]
	v_mul_f64_e32 v[125:126], s[24:25], v[88:89]
	v_mul_f64_e32 v[88:89], s[34:35], v[88:89]
	s_delay_alu instid0(VALU_DEP_4) | instskip(SKIP_2) | instid1(VALU_DEP_4)
	v_add_f64_e32 v[72:73], v[127:128], v[72:73]
	v_mul_f64_e32 v[127:128], s[28:29], v[90:91]
	v_add_f64_e32 v[76:77], v[80:81], v[76:77]
	v_fma_f64 v[145:146], v[113:114], s[4:5], -v[88:89]
	v_fma_f64 v[88:89], v[113:114], s[4:5], v[88:89]
	s_delay_alu instid0(VALU_DEP_4) | instskip(SKIP_2) | instid1(VALU_DEP_3)
	v_fma_f64 v[80:81], v[109:110], s[18:19], v[127:128]
	v_fma_f64 v[129:130], v[109:110], s[18:19], -v[127:128]
	v_fma_f64 v[127:128], v[113:114], s[10:11], -v[125:126]
	v_add_f64_e32 v[80:81], v[80:81], v[78:79]
	v_fma_f64 v[78:79], v[107:108], s[6:7], -v[135:136]
	s_delay_alu instid0(VALU_DEP_4) | instskip(SKIP_1) | instid1(VALU_DEP_3)
	v_add_f64_e32 v[129:130], v[129:130], v[74:75]
	v_fma_f64 v[74:75], v[107:108], s[6:7], v[135:136]
	v_add_f64_e32 v[78:79], v[78:79], v[76:77]
	v_add_f64_e32 v[76:77], v[82:83], v[80:81]
	v_fma_f64 v[80:81], v[117:118], s[14:15], -v[121:122]
	s_delay_alu instid0(VALU_DEP_4)
	v_add_f64_e32 v[74:75], v[74:75], v[72:73]
	v_fma_f64 v[72:73], v[92:93], s[6:7], -v[141:142]
	v_mul_f64_e32 v[141:142], s[22:23], v[105:106]
	v_mul_f64_e32 v[105:106], s[16:17], v[105:106]
	v_add_f64_e32 v[80:81], v[80:81], v[123:124]
	v_mul_f64_e32 v[123:124], s[26:27], v[86:87]
	v_add_f64_e32 v[72:73], v[72:73], v[129:130]
	s_delay_alu instid0(VALU_DEP_3) | instskip(NEXT) | instid1(VALU_DEP_3)
	v_add_f64_e32 v[80:81], v[127:128], v[80:81]
	v_fma_f64 v[82:83], v[119:120], s[14:15], v[123:124]
	v_mul_f64_e32 v[127:128], s[24:25], v[111:112]
	v_mul_f64_e32 v[111:112], s[34:35], v[111:112]
	s_delay_alu instid0(VALU_DEP_3) | instskip(NEXT) | instid1(VALU_DEP_3)
	v_add_f64_e32 v[82:83], v[82:83], v[147:148]
	v_fma_f64 v[129:130], v[115:116], s[10:11], v[127:128]
	s_delay_alu instid0(VALU_DEP_1) | instskip(SKIP_2) | instid1(VALU_DEP_2)
	v_add_f64_e32 v[82:83], v[129:130], v[82:83]
	v_mul_f64_e32 v[129:130], s[20:21], v[101:102]
	v_mul_f64_e32 v[101:102], s[30:31], v[101:102]
	v_fma_f64 v[135:136], v[103:104], s[6:7], -v[129:130]
	s_delay_alu instid0(VALU_DEP_1) | instskip(SKIP_2) | instid1(VALU_DEP_2)
	v_add_f64_e32 v[80:81], v[135:136], v[80:81]
	v_mul_f64_e32 v[135:136], s[20:21], v[90:91]
	v_mul_f64_e32 v[90:91], s[30:31], v[90:91]
	v_fma_f64 v[137:138], v[109:110], s[6:7], v[135:136]
	s_delay_alu instid0(VALU_DEP_1) | instskip(SKIP_1) | instid1(VALU_DEP_1)
	v_add_f64_e32 v[137:138], v[137:138], v[82:83]
	v_fma_f64 v[82:83], v[107:108], s[4:5], -v[141:142]
	v_add_f64_e32 v[82:83], v[82:83], v[80:81]
	v_fma_f64 v[80:81], v[92:93], s[4:5], v[143:144]
	s_delay_alu instid0(VALU_DEP_1) | instskip(SKIP_1) | instid1(VALU_DEP_1)
	v_add_f64_e32 v[80:81], v[80:81], v[137:138]
	v_mul_f64_e32 v[137:138], s[20:21], v[84:85]
	v_fma_f64 v[84:85], v[117:118], s[6:7], -v[137:138]
	v_fma_f64 v[137:138], v[117:118], s[6:7], v[137:138]
	s_delay_alu instid0(VALU_DEP_2) | instskip(SKIP_1) | instid1(VALU_DEP_3)
	v_add_f64_e32 v[84:85], v[84:85], v[133:134]
	v_mul_f64_e32 v[133:134], s[20:21], v[86:87]
	v_add_f64_e32 v[137:138], v[137:138], v[153:154]
	s_delay_alu instid0(VALU_DEP_3) | instskip(NEXT) | instid1(VALU_DEP_3)
	v_add_f64_e32 v[84:85], v[145:146], v[84:85]
	v_fma_f64 v[86:87], v[119:120], s[6:7], v[133:134]
	v_fma_f64 v[145:146], v[115:116], s[4:5], v[111:112]
	v_fma_f64 v[133:134], v[119:120], s[6:7], -v[133:134]
	v_fma_f64 v[111:112], v[115:116], s[4:5], -v[111:112]
	v_add_f64_e32 v[88:89], v[88:89], v[137:138]
	v_add_f64_e32 v[86:87], v[86:87], v[149:150]
	s_delay_alu instid0(VALU_DEP_4) | instskip(NEXT) | instid1(VALU_DEP_2)
	v_add_f64_e32 v[133:134], v[133:134], v[155:156]
	v_add_f64_e32 v[86:87], v[145:146], v[86:87]
	v_fma_f64 v[145:146], v[103:104], s[10:11], -v[101:102]
	s_delay_alu instid0(VALU_DEP_3) | instskip(SKIP_2) | instid1(VALU_DEP_4)
	v_add_f64_e32 v[111:112], v[111:112], v[133:134]
	v_fma_f64 v[101:102], v[103:104], s[10:11], v[101:102]
	v_fma_f64 v[103:104], v[103:104], s[6:7], v[129:130]
	v_add_f64_e32 v[84:85], v[145:146], v[84:85]
	v_fma_f64 v[145:146], v[109:110], s[10:11], v[90:91]
	v_fma_f64 v[90:91], v[109:110], s[10:11], -v[90:91]
	v_add_f64_e32 v[88:89], v[101:102], v[88:89]
	v_fma_f64 v[109:110], v[109:110], s[6:7], -v[135:136]
	s_delay_alu instid0(VALU_DEP_4)
	v_add_f64_e32 v[145:146], v[145:146], v[86:87]
	v_fma_f64 v[86:87], v[107:108], s[18:19], -v[105:106]
	v_add_f64_e32 v[101:102], v[90:91], v[111:112]
	v_fma_f64 v[90:91], v[107:108], s[18:19], v[105:106]
	v_fma_f64 v[105:106], v[113:114], s[10:11], v[125:126]
	v_fma_f64 v[111:112], v[115:116], s[10:11], -v[127:128]
	v_add_f64_e32 v[86:87], v[86:87], v[84:85]
	v_fma_f64 v[84:85], v[92:93], s[18:19], v[94:95]
	v_fma_f64 v[94:95], v[92:93], s[18:19], -v[94:95]
	v_add_f64_e32 v[90:91], v[90:91], v[88:89]
	v_fma_f64 v[92:93], v[92:93], s[4:5], -v[143:144]
	s_delay_alu instid0(VALU_DEP_4) | instskip(NEXT) | instid1(VALU_DEP_4)
	v_add_f64_e32 v[84:85], v[84:85], v[145:146]
	v_add_f64_e32 v[88:89], v[94:95], v[101:102]
	v_fma_f64 v[94:95], v[117:118], s[14:15], v[121:122]
	v_fma_f64 v[101:102], v[119:120], s[14:15], -v[123:124]
	s_delay_alu instid0(VALU_DEP_2) | instskip(NEXT) | instid1(VALU_DEP_2)
	v_add_f64_e32 v[94:95], v[94:95], v[131:132]
	v_add_f64_e32 v[101:102], v[101:102], v[139:140]
	s_delay_alu instid0(VALU_DEP_2) | instskip(NEXT) | instid1(VALU_DEP_2)
	v_add_f64_e32 v[94:95], v[105:106], v[94:95]
	v_add_f64_e32 v[101:102], v[111:112], v[101:102]
	v_fma_f64 v[105:106], v[107:108], s[4:5], v[141:142]
	s_delay_alu instid0(VALU_DEP_3) | instskip(NEXT) | instid1(VALU_DEP_3)
	v_add_f64_e32 v[94:95], v[103:104], v[94:95]
	v_add_f64_e32 v[101:102], v[109:110], v[101:102]
	s_delay_alu instid0(VALU_DEP_2) | instskip(NEXT) | instid1(VALU_DEP_2)
	v_add_f64_e32 v[94:95], v[105:106], v[94:95]
	v_add_f64_e32 v[92:93], v[92:93], v[101:102]
	v_and_b32_e32 v101, 0xffff, v187
	s_delay_alu instid0(VALU_DEP_1)
	v_lshlrev_b32_e32 v101, 4, v101
	ds_store_b128 v101, v[32:35] offset:64
	ds_store_b128 v101, v[8:11] offset:80
	;; [unrolled: 1-line block ×9, first 2 shown]
	ds_store_b128 v101, v[0:3]
	ds_store_b128 v101, v[92:95] offset:160
.LBB0_13:
	s_or_b32 exec_lo, exec_lo, s33
	global_wb scope:SCOPE_SE
	s_wait_dscnt 0x0
	s_barrier_signal -1
	s_barrier_wait -1
	global_inv scope:SCOPE_SE
	ds_load_b128 v[0:3], v97 offset:3168
	ds_load_b128 v[4:7], v97 offset:6336
	;; [unrolled: 1-line block ×4, first 2 shown]
	s_mov_b32 s4, 0xe8584caa
	s_mov_b32 s5, 0xbfebb67a
	;; [unrolled: 1-line block ×3, first 2 shown]
	s_wait_alu 0xfffe
	s_mov_b32 s6, s4
	s_wait_dscnt 0x3
	v_mul_f64_e32 v[32:33], v[18:19], v[2:3]
	s_wait_dscnt 0x2
	v_mul_f64_e32 v[34:35], v[14:15], v[6:7]
	v_mul_f64_e32 v[18:19], v[18:19], v[0:1]
	;; [unrolled: 1-line block ×3, first 2 shown]
	s_wait_dscnt 0x1
	v_mul_f64_e32 v[72:73], v[30:31], v[10:11]
	s_wait_dscnt 0x0
	v_mul_f64_e32 v[74:75], v[26:27], v[22:23]
	v_mul_f64_e32 v[30:31], v[30:31], v[8:9]
	;; [unrolled: 1-line block ×3, first 2 shown]
	v_fma_f64 v[32:33], v[16:17], v[0:1], v[32:33]
	v_fma_f64 v[34:35], v[12:13], v[4:5], v[34:35]
	v_fma_f64 v[16:17], v[16:17], v[2:3], -v[18:19]
	v_fma_f64 v[12:13], v[12:13], v[6:7], -v[14:15]
	v_fma_f64 v[8:9], v[28:29], v[8:9], v[72:73]
	v_fma_f64 v[14:15], v[24:25], v[20:21], v[74:75]
	v_fma_f64 v[10:11], v[28:29], v[10:11], -v[30:31]
	v_fma_f64 v[18:19], v[24:25], v[22:23], -v[26:27]
	ds_load_b128 v[0:3], v97
	ds_load_b128 v[4:7], v97 offset:1584
	global_wb scope:SCOPE_SE
	s_wait_dscnt 0x0
	s_barrier_signal -1
	s_barrier_wait -1
	global_inv scope:SCOPE_SE
	v_add_f64_e32 v[28:29], v[0:1], v[32:33]
	v_add_f64_e32 v[20:21], v[32:33], v[34:35]
	v_add_f64_e64 v[32:33], v[32:33], -v[34:35]
	v_add_f64_e32 v[22:23], v[16:17], v[12:13]
	v_add_f64_e64 v[30:31], v[16:17], -v[12:13]
	v_add_f64_e32 v[24:25], v[8:9], v[14:15]
	v_add_f64_e32 v[16:17], v[2:3], v[16:17]
	;; [unrolled: 1-line block ×5, first 2 shown]
	v_add_f64_e64 v[76:77], v[10:11], -v[18:19]
	v_add_f64_e64 v[78:79], v[8:9], -v[14:15]
	v_fma_f64 v[20:21], v[20:21], -0.5, v[0:1]
	v_add_f64_e32 v[0:1], v[28:29], v[34:35]
	v_fma_f64 v[22:23], v[22:23], -0.5, v[2:3]
	v_fma_f64 v[24:25], v[24:25], -0.5, v[4:5]
	v_add_f64_e32 v[2:3], v[16:17], v[12:13]
	v_fma_f64 v[26:27], v[26:27], -0.5, v[6:7]
	v_add_f64_e32 v[4:5], v[72:73], v[14:15]
	v_add_f64_e32 v[6:7], v[74:75], v[18:19]
	v_fma_f64 v[8:9], v[30:31], s[4:5], v[20:21]
	s_wait_alu 0xfffe
	v_fma_f64 v[12:13], v[30:31], s[6:7], v[20:21]
	v_fma_f64 v[10:11], v[32:33], s[6:7], v[22:23]
	;; [unrolled: 1-line block ×7, first 2 shown]
	ds_store_b128 v99, v[0:3]
	ds_store_b128 v99, v[8:11] offset:176
	ds_store_b128 v99, v[12:15] offset:352
	ds_store_b128 v98, v[4:7]
	ds_store_b128 v98, v[16:19] offset:176
	ds_store_b128 v98, v[20:23] offset:352
	global_wb scope:SCOPE_SE
	s_wait_dscnt 0x0
	s_barrier_signal -1
	s_barrier_wait -1
	global_inv scope:SCOPE_SE
	ds_load_b128 v[0:3], v97 offset:4752
	ds_load_b128 v[4:7], v97 offset:7920
	ds_load_b128 v[8:11], v97 offset:1584
	s_wait_dscnt 0x2
	v_mul_f64_e32 v[12:13], v[38:39], v[0:1]
	s_wait_dscnt 0x1
	v_mul_f64_e32 v[14:15], v[54:55], v[4:5]
	;; [unrolled: 2-line block ×3, first 2 shown]
	v_mul_f64_e32 v[22:23], v[38:39], v[2:3]
	v_mul_f64_e32 v[24:25], v[54:55], v[6:7]
	v_fma_f64 v[26:27], v[36:37], v[2:3], -v[12:13]
	v_fma_f64 v[6:7], v[52:53], v[6:7], -v[14:15]
	ds_load_b128 v[12:15], v97 offset:3168
	ds_load_b128 v[16:19], v97 offset:6336
	v_mul_f64_e32 v[2:3], v[42:43], v[10:11]
	v_fma_f64 v[22:23], v[36:37], v[0:1], v[22:23]
	v_fma_f64 v[4:5], v[52:53], v[4:5], v[24:25]
	v_fma_f64 v[10:11], v[40:41], v[10:11], -v[20:21]
	s_wait_dscnt 0x1
	v_mul_f64_e32 v[28:29], v[50:51], v[14:15]
	v_mul_f64_e32 v[30:31], v[50:51], v[12:13]
	s_wait_dscnt 0x0
	v_mul_f64_e32 v[32:33], v[46:47], v[18:19]
	v_mul_f64_e32 v[34:35], v[46:47], v[16:17]
	v_add_f64_e32 v[0:1], v[26:27], v[6:7]
	v_fma_f64 v[8:9], v[40:41], v[8:9], v[2:3]
	v_add_f64_e32 v[2:3], v[22:23], v[4:5]
	v_add_f64_e64 v[20:21], v[22:23], -v[4:5]
	v_fma_f64 v[12:13], v[48:49], v[12:13], v[28:29]
	v_fma_f64 v[14:15], v[48:49], v[14:15], -v[30:31]
	v_fma_f64 v[16:17], v[44:45], v[16:17], v[32:33]
	v_fma_f64 v[18:19], v[44:45], v[18:19], -v[34:35]
	v_add_f64_e64 v[30:31], v[26:27], -v[6:7]
	v_fma_f64 v[0:1], v[0:1], -0.5, v[10:11]
	v_add_f64_e32 v[10:11], v[10:11], v[26:27]
	v_fma_f64 v[32:33], v[2:3], -0.5, v[8:9]
	v_add_f64_e32 v[8:9], v[8:9], v[22:23]
	v_add_f64_e32 v[24:25], v[12:13], v[16:17]
	;; [unrolled: 1-line block ×3, first 2 shown]
	v_add_f64_e64 v[38:39], v[14:15], -v[18:19]
	v_fma_f64 v[34:35], v[20:21], s[6:7], v[0:1]
	v_fma_f64 v[20:21], v[20:21], s[4:5], v[0:1]
	ds_load_b128 v[0:3], v97
	v_add_f64_e32 v[6:7], v[10:11], v[6:7]
	v_fma_f64 v[22:23], v[30:31], s[4:5], v[32:33]
	v_add_f64_e32 v[4:5], v[8:9], v[4:5]
	global_wb scope:SCOPE_SE
	s_wait_dscnt 0x0
	s_barrier_signal -1
	s_barrier_wait -1
	global_inv scope:SCOPE_SE
	v_add_f64_e32 v[36:37], v[0:1], v[12:13]
	v_add_f64_e32 v[14:15], v[2:3], v[14:15]
	v_add_f64_e64 v[12:13], v[12:13], -v[16:17]
	v_fma_f64 v[0:1], v[24:25], -0.5, v[0:1]
	v_fma_f64 v[2:3], v[28:29], -0.5, v[2:3]
	v_fma_f64 v[24:25], v[30:31], s[6:7], v[32:33]
	v_mul_f64_e32 v[26:27], s[4:5], v[34:35]
	v_mul_f64_e32 v[30:31], 0.5, v[34:35]
	v_mul_f64_e32 v[28:29], s[4:5], v[20:21]
	v_mul_f64_e32 v[20:21], -0.5, v[20:21]
	v_add_f64_e32 v[16:17], v[36:37], v[16:17]
	v_add_f64_e32 v[14:15], v[14:15], v[18:19]
	v_fma_f64 v[18:19], v[38:39], s[4:5], v[0:1]
	v_fma_f64 v[34:35], v[12:13], s[6:7], v[2:3]
	;; [unrolled: 1-line block ×4, first 2 shown]
	v_fma_f64 v[26:27], v[22:23], 0.5, v[26:27]
	v_fma_f64 v[22:23], v[22:23], s[6:7], v[30:31]
	v_fma_f64 v[28:29], v[24:25], -0.5, v[28:29]
	v_fma_f64 v[24:25], v[24:25], s[6:7], v[20:21]
	v_add_f64_e32 v[0:1], v[16:17], v[4:5]
	v_add_f64_e32 v[2:3], v[14:15], v[6:7]
	v_add_f64_e64 v[6:7], v[14:15], -v[6:7]
	v_add_f64_e64 v[4:5], v[16:17], -v[4:5]
	v_add_f64_e32 v[8:9], v[18:19], v[26:27]
	v_add_f64_e32 v[10:11], v[34:35], v[22:23]
	;; [unrolled: 1-line block ×4, first 2 shown]
	v_add_f64_e64 v[16:17], v[18:19], -v[26:27]
	v_add_f64_e64 v[18:19], v[34:35], -v[22:23]
	;; [unrolled: 1-line block ×4, first 2 shown]
	ds_store_b128 v100, v[0:3]
	ds_store_b128 v100, v[8:11] offset:528
	ds_store_b128 v100, v[12:15] offset:1056
	;; [unrolled: 1-line block ×5, first 2 shown]
	global_wb scope:SCOPE_SE
	s_wait_dscnt 0x0
	s_barrier_signal -1
	s_barrier_wait -1
	global_inv scope:SCOPE_SE
	ds_load_b128 v[0:3], v97 offset:3168
	ds_load_b128 v[4:7], v97 offset:6336
	;; [unrolled: 1-line block ×4, first 2 shown]
	s_wait_dscnt 0x3
	v_mul_f64_e32 v[16:17], v[62:63], v[2:3]
	v_mul_f64_e32 v[18:19], v[62:63], v[0:1]
	s_wait_dscnt 0x2
	v_mul_f64_e32 v[20:21], v[58:59], v[6:7]
	v_mul_f64_e32 v[22:23], v[58:59], v[4:5]
	s_wait_dscnt 0x1
	v_mul_f64_e32 v[24:25], v[70:71], v[10:11]
	v_mul_f64_e32 v[26:27], v[70:71], v[8:9]
	s_wait_dscnt 0x0
	v_mul_f64_e32 v[28:29], v[66:67], v[14:15]
	v_mul_f64_e32 v[30:31], v[66:67], v[12:13]
	v_fma_f64 v[16:17], v[60:61], v[0:1], v[16:17]
	v_fma_f64 v[18:19], v[60:61], v[2:3], -v[18:19]
	v_fma_f64 v[20:21], v[56:57], v[4:5], v[20:21]
	v_fma_f64 v[22:23], v[56:57], v[6:7], -v[22:23]
	v_fma_f64 v[8:9], v[68:69], v[8:9], v[24:25]
	v_fma_f64 v[10:11], v[68:69], v[10:11], -v[26:27]
	v_fma_f64 v[12:13], v[64:65], v[12:13], v[28:29]
	v_fma_f64 v[14:15], v[64:65], v[14:15], -v[30:31]
	ds_load_b128 v[0:3], v97
	ds_load_b128 v[4:7], v97 offset:1584
	s_wait_dscnt 0x1
	v_add_f64_e32 v[32:33], v[0:1], v[16:17]
	v_add_f64_e32 v[24:25], v[16:17], v[20:21]
	v_add_f64_e32 v[26:27], v[18:19], v[22:23]
	v_add_f64_e64 v[34:35], v[18:19], -v[22:23]
	v_add_f64_e32 v[18:19], v[2:3], v[18:19]
	v_add_f64_e32 v[28:29], v[8:9], v[12:13]
	;; [unrolled: 1-line block ×3, first 2 shown]
	s_wait_dscnt 0x0
	v_add_f64_e32 v[36:37], v[4:5], v[8:9]
	v_add_f64_e32 v[38:39], v[6:7], v[10:11]
	v_add_f64_e64 v[16:17], v[16:17], -v[20:21]
	v_add_f64_e64 v[40:41], v[10:11], -v[14:15]
	;; [unrolled: 1-line block ×3, first 2 shown]
	v_fma_f64 v[24:25], v[24:25], -0.5, v[0:1]
	v_fma_f64 v[26:27], v[26:27], -0.5, v[2:3]
	v_add_f64_e32 v[0:1], v[32:33], v[20:21]
	v_add_f64_e32 v[2:3], v[18:19], v[22:23]
	v_fma_f64 v[28:29], v[28:29], -0.5, v[4:5]
	v_fma_f64 v[30:31], v[30:31], -0.5, v[6:7]
	v_add_f64_e32 v[4:5], v[36:37], v[12:13]
	v_add_f64_e32 v[6:7], v[38:39], v[14:15]
	v_fma_f64 v[8:9], v[34:35], s[4:5], v[24:25]
	v_fma_f64 v[10:11], v[16:17], s[6:7], v[26:27]
	;; [unrolled: 1-line block ×8, first 2 shown]
	ds_store_b128 v97, v[0:3]
	ds_store_b128 v97, v[4:7] offset:1584
	ds_store_b128 v97, v[8:11] offset:3168
	;; [unrolled: 1-line block ×5, first 2 shown]
	global_wb scope:SCOPE_SE
	s_wait_dscnt 0x0
	s_barrier_signal -1
	s_barrier_wait -1
	global_inv scope:SCOPE_SE
	s_and_b32 exec_lo, exec_lo, vcc_lo
	s_cbranch_execz .LBB0_15
; %bb.14:
	s_clause 0xa
	global_load_b128 v[0:3], v185, s[12:13]
	global_load_b128 v[4:7], v185, s[12:13] offset:864
	global_load_b128 v[8:11], v185, s[12:13] offset:1728
	;; [unrolled: 1-line block ×10, first 2 shown]
	v_mad_co_u64_u32 v[88:89], null, s2, v96, 0
	v_mad_co_u64_u32 v[90:91], null, s0, v186, 0
	ds_load_b128 v[44:47], v97
	ds_load_b128 v[48:51], v185 offset:864
	ds_load_b128 v[52:55], v185 offset:1728
	;; [unrolled: 1-line block ×3, first 2 shown]
	v_mov_b32_e32 v60, v89
	v_mov_b32_e32 v68, v91
	s_delay_alu instid0(VALU_DEP_2)
	v_mad_co_u64_u32 v[76:77], null, s3, v96, v[60:61]
	ds_load_b128 v[60:63], v185 offset:3456
	ds_load_b128 v[64:67], v185 offset:4320
	v_mad_co_u64_u32 v[91:92], null, s1, v186, v[68:69]
	ds_load_b128 v[68:71], v185 offset:5184
	ds_load_b128 v[72:75], v185 offset:6048
	s_mul_u64 s[0:1], s[0:1], 0x360
	s_mov_b32 s2, 0x2b18ff23
	v_mov_b32_e32 v89, v76
	ds_load_b128 v[76:79], v185 offset:6912
	ds_load_b128 v[80:83], v185 offset:7776
	;; [unrolled: 1-line block ×3, first 2 shown]
	s_mov_b32 s3, 0x3f5b951e
	v_lshlrev_b64_e32 v[90:91], 4, v[90:91]
	v_lshlrev_b64_e32 v[88:89], 4, v[88:89]
	s_delay_alu instid0(VALU_DEP_1) | instskip(NEXT) | instid1(VALU_DEP_2)
	v_add_co_u32 v88, vcc_lo, s8, v88
	v_add_co_ci_u32_e32 v89, vcc_lo, s9, v89, vcc_lo
	s_delay_alu instid0(VALU_DEP_2) | instskip(SKIP_1) | instid1(VALU_DEP_2)
	v_add_co_u32 v88, vcc_lo, v88, v90
	s_wait_alu 0xfffd
	v_add_co_ci_u32_e32 v89, vcc_lo, v89, v91, vcc_lo
	s_wait_alu 0xfffe
	s_delay_alu instid0(VALU_DEP_2) | instskip(SKIP_1) | instid1(VALU_DEP_2)
	v_add_co_u32 v90, vcc_lo, v88, s0
	s_wait_alu 0xfffd
	v_add_co_ci_u32_e32 v91, vcc_lo, s1, v89, vcc_lo
	s_wait_loadcnt_dscnt 0xa0a
	v_mul_f64_e32 v[92:93], v[46:47], v[2:3]
	v_mul_f64_e32 v[2:3], v[44:45], v[2:3]
	s_wait_loadcnt_dscnt 0x909
	v_mul_f64_e32 v[94:95], v[50:51], v[6:7]
	v_mul_f64_e32 v[6:7], v[48:49], v[6:7]
	;; [unrolled: 3-line block ×11, first 2 shown]
	v_fma_f64 v[44:45], v[44:45], v[0:1], v[92:93]
	v_fma_f64 v[2:3], v[0:1], v[46:47], -v[2:3]
	v_fma_f64 v[46:47], v[48:49], v[4:5], v[94:95]
	v_fma_f64 v[6:7], v[4:5], v[50:51], -v[6:7]
	;; [unrolled: 2-line block ×11, first 2 shown]
	v_add_co_u32 v66, vcc_lo, v90, s0
	s_wait_alu 0xfffd
	v_add_co_ci_u32_e32 v67, vcc_lo, s1, v91, vcc_lo
	s_delay_alu instid0(VALU_DEP_2) | instskip(SKIP_1) | instid1(VALU_DEP_2)
	v_add_co_u32 v68, vcc_lo, v66, s0
	s_wait_alu 0xfffd
	v_add_co_ci_u32_e32 v69, vcc_lo, s1, v67, vcc_lo
	s_delay_alu instid0(VALU_DEP_2) | instskip(SKIP_1) | instid1(VALU_DEP_2)
	v_add_co_u32 v70, vcc_lo, v68, s0
	s_wait_alu 0xfffd
	v_add_co_ci_u32_e32 v71, vcc_lo, s1, v69, vcc_lo
	v_mul_f64_e32 v[0:1], s[2:3], v[44:45]
	v_mul_f64_e32 v[2:3], s[2:3], v[2:3]
	;; [unrolled: 1-line block ×22, first 2 shown]
	v_add_co_u32 v44, vcc_lo, v70, s0
	s_wait_alu 0xfffd
	v_add_co_ci_u32_e32 v45, vcc_lo, s1, v71, vcc_lo
	s_delay_alu instid0(VALU_DEP_2) | instskip(SKIP_1) | instid1(VALU_DEP_2)
	v_add_co_u32 v46, vcc_lo, v44, s0
	s_wait_alu 0xfffd
	v_add_co_ci_u32_e32 v47, vcc_lo, s1, v45, vcc_lo
	s_delay_alu instid0(VALU_DEP_2) | instskip(SKIP_1) | instid1(VALU_DEP_2)
	;; [unrolled: 4-line block ×5, first 2 shown]
	v_add_co_u32 v54, vcc_lo, v52, s0
	s_wait_alu 0xfffd
	v_add_co_ci_u32_e32 v55, vcc_lo, s1, v53, vcc_lo
	s_clause 0x4
	global_store_b128 v[88:89], v[0:3], off
	global_store_b128 v[90:91], v[4:7], off
	;; [unrolled: 1-line block ×11, first 2 shown]
.LBB0_15:
	s_nop 0
	s_sendmsg sendmsg(MSG_DEALLOC_VGPRS)
	s_endpgm
	.section	.rodata,"a",@progbits
	.p2align	6, 0x0
	.amdhsa_kernel bluestein_single_back_len594_dim1_dp_op_CI_CI
		.amdhsa_group_segment_fixed_size 9504
		.amdhsa_private_segment_fixed_size 0
		.amdhsa_kernarg_size 104
		.amdhsa_user_sgpr_count 2
		.amdhsa_user_sgpr_dispatch_ptr 0
		.amdhsa_user_sgpr_queue_ptr 0
		.amdhsa_user_sgpr_kernarg_segment_ptr 1
		.amdhsa_user_sgpr_dispatch_id 0
		.amdhsa_user_sgpr_private_segment_size 0
		.amdhsa_wavefront_size32 1
		.amdhsa_uses_dynamic_stack 0
		.amdhsa_enable_private_segment 0
		.amdhsa_system_sgpr_workgroup_id_x 1
		.amdhsa_system_sgpr_workgroup_id_y 0
		.amdhsa_system_sgpr_workgroup_id_z 0
		.amdhsa_system_sgpr_workgroup_info 0
		.amdhsa_system_vgpr_workitem_id 0
		.amdhsa_next_free_vgpr 227
		.amdhsa_next_free_sgpr 36
		.amdhsa_reserve_vcc 1
		.amdhsa_float_round_mode_32 0
		.amdhsa_float_round_mode_16_64 0
		.amdhsa_float_denorm_mode_32 3
		.amdhsa_float_denorm_mode_16_64 3
		.amdhsa_fp16_overflow 0
		.amdhsa_workgroup_processor_mode 1
		.amdhsa_memory_ordered 1
		.amdhsa_forward_progress 0
		.amdhsa_round_robin_scheduling 0
		.amdhsa_exception_fp_ieee_invalid_op 0
		.amdhsa_exception_fp_denorm_src 0
		.amdhsa_exception_fp_ieee_div_zero 0
		.amdhsa_exception_fp_ieee_overflow 0
		.amdhsa_exception_fp_ieee_underflow 0
		.amdhsa_exception_fp_ieee_inexact 0
		.amdhsa_exception_int_div_zero 0
	.end_amdhsa_kernel
	.text
.Lfunc_end0:
	.size	bluestein_single_back_len594_dim1_dp_op_CI_CI, .Lfunc_end0-bluestein_single_back_len594_dim1_dp_op_CI_CI
                                        ; -- End function
	.section	.AMDGPU.csdata,"",@progbits
; Kernel info:
; codeLenInByte = 11084
; NumSgprs: 38
; NumVgprs: 227
; ScratchSize: 0
; MemoryBound: 0
; FloatMode: 240
; IeeeMode: 1
; LDSByteSize: 9504 bytes/workgroup (compile time only)
; SGPRBlocks: 4
; VGPRBlocks: 28
; NumSGPRsForWavesPerEU: 38
; NumVGPRsForWavesPerEU: 227
; Occupancy: 6
; WaveLimiterHint : 1
; COMPUTE_PGM_RSRC2:SCRATCH_EN: 0
; COMPUTE_PGM_RSRC2:USER_SGPR: 2
; COMPUTE_PGM_RSRC2:TRAP_HANDLER: 0
; COMPUTE_PGM_RSRC2:TGID_X_EN: 1
; COMPUTE_PGM_RSRC2:TGID_Y_EN: 0
; COMPUTE_PGM_RSRC2:TGID_Z_EN: 0
; COMPUTE_PGM_RSRC2:TIDIG_COMP_CNT: 0
	.text
	.p2alignl 7, 3214868480
	.fill 96, 4, 3214868480
	.type	__hip_cuid_e9f16beb12542343,@object ; @__hip_cuid_e9f16beb12542343
	.section	.bss,"aw",@nobits
	.globl	__hip_cuid_e9f16beb12542343
__hip_cuid_e9f16beb12542343:
	.byte	0                               ; 0x0
	.size	__hip_cuid_e9f16beb12542343, 1

	.ident	"AMD clang version 19.0.0git (https://github.com/RadeonOpenCompute/llvm-project roc-6.4.0 25133 c7fe45cf4b819c5991fe208aaa96edf142730f1d)"
	.section	".note.GNU-stack","",@progbits
	.addrsig
	.addrsig_sym __hip_cuid_e9f16beb12542343
	.amdgpu_metadata
---
amdhsa.kernels:
  - .args:
      - .actual_access:  read_only
        .address_space:  global
        .offset:         0
        .size:           8
        .value_kind:     global_buffer
      - .actual_access:  read_only
        .address_space:  global
        .offset:         8
        .size:           8
        .value_kind:     global_buffer
      - .actual_access:  read_only
        .address_space:  global
        .offset:         16
        .size:           8
        .value_kind:     global_buffer
      - .actual_access:  read_only
        .address_space:  global
        .offset:         24
        .size:           8
        .value_kind:     global_buffer
      - .actual_access:  read_only
        .address_space:  global
        .offset:         32
        .size:           8
        .value_kind:     global_buffer
      - .offset:         40
        .size:           8
        .value_kind:     by_value
      - .address_space:  global
        .offset:         48
        .size:           8
        .value_kind:     global_buffer
      - .address_space:  global
        .offset:         56
        .size:           8
        .value_kind:     global_buffer
      - .address_space:  global
        .offset:         64
        .size:           8
        .value_kind:     global_buffer
      - .address_space:  global
        .offset:         72
        .size:           8
        .value_kind:     global_buffer
      - .offset:         80
        .size:           4
        .value_kind:     by_value
      - .address_space:  global
        .offset:         88
        .size:           8
        .value_kind:     global_buffer
      - .address_space:  global
        .offset:         96
        .size:           8
        .value_kind:     global_buffer
    .group_segment_fixed_size: 9504
    .kernarg_segment_align: 8
    .kernarg_segment_size: 104
    .language:       OpenCL C
    .language_version:
      - 2
      - 0
    .max_flat_workgroup_size: 99
    .name:           bluestein_single_back_len594_dim1_dp_op_CI_CI
    .private_segment_fixed_size: 0
    .sgpr_count:     38
    .sgpr_spill_count: 0
    .symbol:         bluestein_single_back_len594_dim1_dp_op_CI_CI.kd
    .uniform_work_group_size: 1
    .uses_dynamic_stack: false
    .vgpr_count:     227
    .vgpr_spill_count: 0
    .wavefront_size: 32
    .workgroup_processor_mode: 1
amdhsa.target:   amdgcn-amd-amdhsa--gfx1201
amdhsa.version:
  - 1
  - 2
...

	.end_amdgpu_metadata
